;; amdgpu-corpus repo=zjin-lcf/HeCBench kind=compiled arch=gfx1100 opt=O3
	.text
	.amdgcn_target "amdgcn-amd-amdhsa--gfx1100"
	.amdhsa_code_object_version 6
	.protected	_Z21binomialOptionsKernelPK13__TOptionDataPf ; -- Begin function _Z21binomialOptionsKernelPK13__TOptionDataPf
	.globl	_Z21binomialOptionsKernelPK13__TOptionDataPf
	.p2align	8
	.type	_Z21binomialOptionsKernelPK13__TOptionDataPf,@function
_Z21binomialOptionsKernelPK13__TOptionDataPf: ; @_Z21binomialOptionsKernelPK13__TOptionDataPf
; %bb.0:
	s_load_b128 s[0:3], s[0:1], 0x0
	s_mul_i32 s4, s15, 20
	s_mul_hi_u32 s5, s15, 20
	v_cmp_eq_u32_e32 vcc_lo, 0, v0
	s_mov_b32 s8, s15
	s_mov_b32 s9, 0
	s_waitcnt lgkmcnt(0)
	s_add_u32 s0, s0, s4
	s_addc_u32 s1, s1, s5
	s_clause 0x1
	s_load_b128 s[4:7], s[0:1], 0x0
	s_load_b32 s1, s[0:1], 0x10
	s_and_saveexec_b32 s0, vcc_lo
	s_cbranch_execz .LBB0_2
; %bb.1:
	s_waitcnt lgkmcnt(0)
	v_mul_f32_e64 v1, 0x45000000, s6
	s_delay_alu instid0(VALU_DEP_1) | instskip(NEXT) | instid1(VALU_DEP_1)
	v_dual_mov_b32 v2, 0 :: v_dual_mul_f32 v1, 0x3fb8aa3b, v1
	v_exp_f32_e32 v1, v1
	s_waitcnt_depctr 0xfff
	v_fma_f32 v1, s4, v1, -s5
	s_delay_alu instid0(VALU_DEP_1)
	v_max_f32_e32 v1, 0, v1
	ds_store_b32 v2, v1 offset:512
.LBB0_2:
	s_or_b32 exec_lo, exec_lo, s0
	v_lshlrev_b32_e32 v8, 5, v0
	s_delay_alu instid0(VALU_DEP_1) | instskip(NEXT) | instid1(VALU_DEP_1)
	v_add_nc_u32_e32 v1, 0xfffff800, v8
	v_cvt_f32_i32_e32 v1, v1
	s_waitcnt lgkmcnt(0)
	s_delay_alu instid0(VALU_DEP_1) | instskip(SKIP_1) | instid1(VALU_DEP_2)
	v_dual_mul_f32 v1, s6, v1 :: v_dual_add_nc_u32 v6, 0xfffff80a, v8
	v_add_nc_u32_e32 v9, 0xfffff80c, v8
	v_cvt_f32_i32_e32 v6, v6
	s_delay_alu instid0(VALU_DEP_1) | instskip(NEXT) | instid1(VALU_DEP_1)
	v_dual_mul_f32 v6, s6, v6 :: v_dual_add_nc_u32 v3, 0xfffff804, v8
	v_cvt_f32_i32_e32 v3, v3
	v_add_nc_u32_e32 v2, 0xfffff802, v8
	s_delay_alu instid0(VALU_DEP_2) | instskip(NEXT) | instid1(VALU_DEP_2)
	v_dual_mul_f32 v6, 0x3fb8aa3b, v6 :: v_dual_mul_f32 v3, s6, v3
	v_cvt_f32_i32_e32 v2, v2
	s_delay_alu instid0(VALU_DEP_1) | instskip(SKIP_1) | instid1(VALU_DEP_2)
	v_dual_mul_f32 v3, 0x3fb8aa3b, v3 :: v_dual_mul_f32 v2, s6, v2
	v_mul_f32_e32 v1, 0x3fb8aa3b, v1
	v_exp_f32_e32 v3, v3
	s_delay_alu instid0(VALU_DEP_2) | instskip(NEXT) | instid1(VALU_DEP_2)
	v_mul_f32_e32 v2, 0x3fb8aa3b, v2
	v_exp_f32_e32 v7, v1
	v_lshlrev_b32_e32 v1, 4, v0
	v_exp_f32_e32 v6, v6
	v_lshlrev_b32_e32 v0, 2, v0
	v_exp_f32_e32 v2, v2
	v_fma_f32 v12, s4, v3, -s5
	s_delay_alu instid0(TRANS32_DEP_3)
	v_fma_f32 v7, s4, v7, -s5
	v_add_nc_u32_e32 v5, 0xfffff808, v8
	s_waitcnt_depctr 0xfff
	v_fma_f32 v15, s4, v6, -s5
	v_cvt_f32_i32_e32 v6, v9
	v_fma_f32 v11, s4, v2, -s5
	v_max_f32_e32 v2, 0, v7
	v_cvt_f32_i32_e32 v5, v5
	v_add_nc_u32_e32 v4, 0xfffff806, v8
	s_delay_alu instid0(VALU_DEP_2) | instskip(NEXT) | instid1(VALU_DEP_2)
	v_dual_mul_f32 v6, s6, v6 :: v_dual_mul_f32 v5, s6, v5
	v_cvt_f32_i32_e32 v4, v4
	s_delay_alu instid0(VALU_DEP_2) | instskip(NEXT) | instid1(VALU_DEP_2)
	v_dual_mul_f32 v6, 0x3fb8aa3b, v6 :: v_dual_mul_f32 v5, 0x3fb8aa3b, v5
	v_mul_f32_e32 v4, s6, v4
	s_delay_alu instid0(VALU_DEP_2) | instskip(NEXT) | instid1(VALU_DEP_2)
	v_exp_f32_e32 v9, v6
	v_exp_f32_e32 v5, v5
	s_delay_alu instid0(VALU_DEP_1) | instskip(NEXT) | instid1(VALU_DEP_1)
	v_mul_f32_e32 v4, 0x3fb8aa3b, v4
	v_exp_f32_e32 v4, v4
	s_delay_alu instid0(TRANS32_DEP_3) | instskip(SKIP_2) | instid1(VALU_DEP_1)
	v_fma_f32 v9, s4, v9, -s5
	s_waitcnt_depctr 0xfff
	v_fma_f32 v14, s4, v5, -s5
	v_dual_max_f32 v6, 0, v14 :: v_dual_add_nc_u32 v3, 0xfffff810, v8
	v_add_nc_u32_e32 v14, 0xfffff816, v8
	v_fma_f32 v13, s4, v4, -s5
	s_delay_alu instid0(VALU_DEP_3) | instskip(SKIP_1) | instid1(VALU_DEP_4)
	v_cvt_f32_i32_e32 v3, v3
	v_add_nc_u32_e32 v10, 0xfffff80e, v8
	v_cvt_f32_i32_e32 v14, v14
	v_add_nc_u32_e32 v5, 0xfffff814, v8
	s_delay_alu instid0(VALU_DEP_4) | instskip(NEXT) | instid1(VALU_DEP_4)
	v_mul_f32_e32 v3, s6, v3
	v_cvt_f32_i32_e32 v7, v10
	s_delay_alu instid0(VALU_DEP_4) | instskip(NEXT) | instid1(VALU_DEP_4)
	v_mul_f32_e32 v14, s6, v14
	v_cvt_f32_i32_e32 v5, v5
	s_delay_alu instid0(VALU_DEP_3) | instskip(SKIP_1) | instid1(VALU_DEP_3)
	v_dual_mul_f32 v7, s6, v7 :: v_dual_add_nc_u32 v4, 0xfffff812, v8
	v_mul_f32_e32 v3, 0x3fb8aa3b, v3
	v_mul_f32_e32 v5, s6, v5
	s_delay_alu instid0(VALU_DEP_3) | instskip(NEXT) | instid1(VALU_DEP_4)
	v_cvt_f32_i32_e32 v4, v4
	v_mul_f32_e32 v7, 0x3fb8aa3b, v7
	s_delay_alu instid0(VALU_DEP_4) | instskip(SKIP_1) | instid1(VALU_DEP_3)
	v_exp_f32_e32 v16, v3
	v_max_f32_e32 v3, 0, v11
	v_dual_mul_f32 v5, 0x3fb8aa3b, v5 :: v_dual_mul_f32 v4, s6, v4
	s_delay_alu instid0(VALU_DEP_3) | instskip(SKIP_2) | instid1(VALU_DEP_3)
	v_exp_f32_e32 v10, v7
	v_max_f32_e32 v7, 0, v15
	v_add_nc_u32_e32 v15, 0xfffff818, v8
	v_exp_f32_e32 v18, v5
	v_dual_mul_f32 v4, 0x3fb8aa3b, v4 :: v_dual_max_f32 v5, 0, v13
	s_delay_alu instid0(TRANS32_DEP_3) | instskip(SKIP_1) | instid1(VALU_DEP_3)
	v_fma_f32 v11, s4, v16, -s5
	v_add_nc_u32_e32 v16, 0xfffff81a, v8
	v_exp_f32_e32 v17, v4
	v_max_f32_e32 v4, 0, v12
	s_delay_alu instid0(TRANS32_DEP_3) | instskip(NEXT) | instid1(VALU_DEP_3)
	v_fma_f32 v10, s4, v10, -s5
	v_cvt_f32_i32_e32 v16, v16
	s_delay_alu instid0(TRANS32_DEP_2) | instskip(SKIP_4) | instid1(VALU_DEP_1)
	v_fma_f32 v13, s4, v18, -s5
	s_waitcnt_depctr 0xfff
	v_fma_f32 v12, s4, v17, -s5
	v_add_nc_u32_e32 v17, 0xfffff81c, v8
	v_add_nc_u32_e32 v8, 0xfffff81e, v8
	v_cvt_f32_i32_e32 v8, v8
	s_delay_alu instid0(VALU_DEP_1) | instskip(NEXT) | instid1(VALU_DEP_1)
	v_mul_f32_e32 v8, s6, v8
	v_mul_f32_e32 v8, 0x3fb8aa3b, v8
	s_delay_alu instid0(VALU_DEP_1)
	v_exp_f32_e32 v18, v8
	v_dual_max_f32 v8, 0, v9 :: v_dual_max_f32 v9, 0, v10
	v_max_f32_e32 v10, 0, v11
	v_cvt_f32_i32_e32 v17, v17
	v_mul_f32_e32 v16, s6, v16
	v_cvt_f32_i32_e32 v15, v15
	v_dual_max_f32 v11, 0, v12 :: v_dual_max_f32 v12, 0, v13
	s_delay_alu instid0(VALU_DEP_4) | instskip(NEXT) | instid1(VALU_DEP_3)
	v_dual_mul_f32 v17, s6, v17 :: v_dual_mul_f32 v14, 0x3fb8aa3b, v14
	v_mul_f32_e32 v15, s6, v15
	s_delay_alu instid0(VALU_DEP_2) | instskip(NEXT) | instid1(VALU_DEP_3)
	v_mul_f32_e32 v17, 0x3fb8aa3b, v17
	v_exp_f32_e32 v14, v14
	s_delay_alu instid0(VALU_DEP_2) | instskip(NEXT) | instid1(VALU_DEP_2)
	v_mul_f32_e32 v15, 0x3fb8aa3b, v15
	v_exp_f32_e32 v17, v17
	s_delay_alu instid0(VALU_DEP_1) | instskip(NEXT) | instid1(TRANS32_DEP_3)
	v_exp_f32_e32 v15, v15
	v_fma_f32 v13, s4, v14, -s5
	s_delay_alu instid0(VALU_DEP_1) | instskip(NEXT) | instid1(VALU_DEP_1)
	v_dual_mul_f32 v16, 0x3fb8aa3b, v16 :: v_dual_max_f32 v13, 0, v13
	v_exp_f32_e32 v16, v16
	s_waitcnt_depctr 0xfff
	v_fma_f32 v14, s4, v15, -s5
	v_fma_f32 v15, s4, v16, -s5
	;; [unrolled: 1-line block ×4, first 2 shown]
	s_delay_alu instid0(VALU_DEP_4) | instskip(SKIP_1) | instid1(VALU_DEP_3)
	v_max_f32_e32 v14, 0, v14
	s_movk_i32 s4, 0x800
	v_dual_max_f32 v15, 0, v15 :: v_dual_max_f32 v16, 0, v16
	s_delay_alu instid0(VALU_DEP_3)
	v_max_f32_e32 v17, 0, v17
	s_branch .LBB0_4
.LBB0_3:                                ;   in Loop: Header=BB0_4 Depth=1
	s_or_b32 exec_lo, exec_lo, s4
	s_add_i32 s4, s5, -1
	s_cmp_eq_u32 s5, 1
	s_cbranch_scc1 .LBB0_36
.LBB0_4:                                ; =>This Inner Loop Header: Depth=1
	ds_store_b32 v0, v2
	s_waitcnt lgkmcnt(0)
	s_barrier
	buffer_gl0_inv
	ds_load_b32 v18, v0 offset:4
	s_mov_b32 s5, exec_lo
	s_waitcnt lgkmcnt(0)
	s_barrier
	buffer_gl0_inv
	v_cmpx_ge_u32_e64 s4, v1
	s_cbranch_execz .LBB0_6
; %bb.5:                                ;   in Loop: Header=BB0_4 Depth=1
	v_mul_f32_e32 v2, s1, v2
	s_delay_alu instid0(VALU_DEP_1) | instskip(SKIP_1) | instid1(VALU_DEP_1)
	v_fmac_f32_e32 v2, s7, v3
	v_mul_f32_e32 v3, s1, v3
	v_fmac_f32_e32 v3, s7, v4
	v_mul_f32_e32 v4, s1, v4
	s_delay_alu instid0(VALU_DEP_1) | instskip(SKIP_1) | instid1(VALU_DEP_1)
	v_fmac_f32_e32 v4, s7, v5
	v_mul_f32_e32 v5, s1, v5
	v_fmac_f32_e32 v5, s7, v6
	;; [unrolled: 5-line block ×8, first 2 shown]
.LBB0_6:                                ;   in Loop: Header=BB0_4 Depth=1
	s_or_b32 exec_lo, exec_lo, s5
	ds_store_b32 v0, v2
	s_waitcnt lgkmcnt(0)
	s_barrier
	buffer_gl0_inv
	ds_load_b32 v18, v0 offset:4
	s_add_i32 s4, s4, -1
	s_mov_b32 s5, exec_lo
	s_waitcnt lgkmcnt(0)
	s_barrier
	buffer_gl0_inv
	v_cmpx_ge_u32_e64 s4, v1
	s_cbranch_execz .LBB0_8
; %bb.7:                                ;   in Loop: Header=BB0_4 Depth=1
	v_mul_f32_e32 v2, s1, v2
	s_delay_alu instid0(VALU_DEP_1) | instskip(SKIP_1) | instid1(VALU_DEP_1)
	v_fmac_f32_e32 v2, s7, v3
	v_mul_f32_e32 v3, s1, v3
	v_fmac_f32_e32 v3, s7, v4
	v_mul_f32_e32 v4, s1, v4
	s_delay_alu instid0(VALU_DEP_1) | instskip(SKIP_1) | instid1(VALU_DEP_1)
	v_fmac_f32_e32 v4, s7, v5
	v_mul_f32_e32 v5, s1, v5
	v_fmac_f32_e32 v5, s7, v6
	;; [unrolled: 5-line block ×8, first 2 shown]
.LBB0_8:                                ;   in Loop: Header=BB0_4 Depth=1
	s_or_b32 exec_lo, exec_lo, s5
	ds_store_b32 v0, v2
	s_waitcnt lgkmcnt(0)
	s_barrier
	buffer_gl0_inv
	ds_load_b32 v18, v0 offset:4
	s_add_i32 s4, s4, -1
	s_mov_b32 s5, exec_lo
	s_waitcnt lgkmcnt(0)
	s_barrier
	buffer_gl0_inv
	v_cmpx_ge_u32_e64 s4, v1
	s_cbranch_execz .LBB0_10
; %bb.9:                                ;   in Loop: Header=BB0_4 Depth=1
	v_mul_f32_e32 v2, s1, v2
	s_delay_alu instid0(VALU_DEP_1) | instskip(SKIP_1) | instid1(VALU_DEP_1)
	v_fmac_f32_e32 v2, s7, v3
	v_mul_f32_e32 v3, s1, v3
	v_fmac_f32_e32 v3, s7, v4
	v_mul_f32_e32 v4, s1, v4
	s_delay_alu instid0(VALU_DEP_1) | instskip(SKIP_1) | instid1(VALU_DEP_1)
	v_fmac_f32_e32 v4, s7, v5
	v_mul_f32_e32 v5, s1, v5
	v_fmac_f32_e32 v5, s7, v6
	;; [unrolled: 5-line block ×8, first 2 shown]
.LBB0_10:                               ;   in Loop: Header=BB0_4 Depth=1
	s_or_b32 exec_lo, exec_lo, s5
	ds_store_b32 v0, v2
	s_waitcnt lgkmcnt(0)
	s_barrier
	buffer_gl0_inv
	ds_load_b32 v18, v0 offset:4
	s_add_i32 s4, s4, -1
	s_mov_b32 s5, exec_lo
	s_waitcnt lgkmcnt(0)
	s_barrier
	buffer_gl0_inv
	v_cmpx_ge_u32_e64 s4, v1
	s_cbranch_execz .LBB0_12
; %bb.11:                               ;   in Loop: Header=BB0_4 Depth=1
	v_mul_f32_e32 v2, s1, v2
	s_delay_alu instid0(VALU_DEP_1) | instskip(SKIP_1) | instid1(VALU_DEP_1)
	v_fmac_f32_e32 v2, s7, v3
	v_mul_f32_e32 v3, s1, v3
	v_fmac_f32_e32 v3, s7, v4
	v_mul_f32_e32 v4, s1, v4
	s_delay_alu instid0(VALU_DEP_1) | instskip(SKIP_1) | instid1(VALU_DEP_1)
	v_fmac_f32_e32 v4, s7, v5
	v_mul_f32_e32 v5, s1, v5
	v_fmac_f32_e32 v5, s7, v6
	v_mul_f32_e32 v6, s1, v6
	s_delay_alu instid0(VALU_DEP_1) | instskip(SKIP_1) | instid1(VALU_DEP_1)
	v_fmac_f32_e32 v6, s7, v7
	v_mul_f32_e32 v7, s1, v7
	v_fmac_f32_e32 v7, s7, v8
	v_mul_f32_e32 v8, s1, v8
	s_delay_alu instid0(VALU_DEP_1) | instskip(SKIP_1) | instid1(VALU_DEP_1)
	v_fmac_f32_e32 v8, s7, v9
	v_mul_f32_e32 v9, s1, v9
	v_fmac_f32_e32 v9, s7, v10
	v_mul_f32_e32 v10, s1, v10
	s_delay_alu instid0(VALU_DEP_1) | instskip(SKIP_1) | instid1(VALU_DEP_1)
	v_fmac_f32_e32 v10, s7, v11
	v_mul_f32_e32 v11, s1, v11
	v_fmac_f32_e32 v11, s7, v12
	v_mul_f32_e32 v12, s1, v12
	s_delay_alu instid0(VALU_DEP_1) | instskip(SKIP_1) | instid1(VALU_DEP_1)
	v_fmac_f32_e32 v12, s7, v13
	v_mul_f32_e32 v13, s1, v13
	v_fmac_f32_e32 v13, s7, v14
	v_mul_f32_e32 v14, s1, v14
	s_delay_alu instid0(VALU_DEP_1) | instskip(SKIP_1) | instid1(VALU_DEP_1)
	v_fmac_f32_e32 v14, s7, v15
	v_mul_f32_e32 v15, s1, v15
	v_fmac_f32_e32 v15, s7, v16
	v_mul_f32_e32 v16, s1, v16
	s_delay_alu instid0(VALU_DEP_1) | instskip(SKIP_1) | instid1(VALU_DEP_1)
	v_fmac_f32_e32 v16, s7, v17
	v_mul_f32_e32 v17, s1, v17
	v_fmac_f32_e32 v17, s7, v18
.LBB0_12:                               ;   in Loop: Header=BB0_4 Depth=1
	s_or_b32 exec_lo, exec_lo, s5
	ds_store_b32 v0, v2
	s_waitcnt lgkmcnt(0)
	s_barrier
	buffer_gl0_inv
	ds_load_b32 v18, v0 offset:4
	s_add_i32 s4, s4, -1
	s_mov_b32 s5, exec_lo
	s_waitcnt lgkmcnt(0)
	s_barrier
	buffer_gl0_inv
	v_cmpx_ge_u32_e64 s4, v1
	s_cbranch_execz .LBB0_14
; %bb.13:                               ;   in Loop: Header=BB0_4 Depth=1
	v_mul_f32_e32 v2, s1, v2
	s_delay_alu instid0(VALU_DEP_1) | instskip(SKIP_1) | instid1(VALU_DEP_1)
	v_fmac_f32_e32 v2, s7, v3
	v_mul_f32_e32 v3, s1, v3
	v_fmac_f32_e32 v3, s7, v4
	v_mul_f32_e32 v4, s1, v4
	s_delay_alu instid0(VALU_DEP_1) | instskip(SKIP_1) | instid1(VALU_DEP_1)
	v_fmac_f32_e32 v4, s7, v5
	v_mul_f32_e32 v5, s1, v5
	v_fmac_f32_e32 v5, s7, v6
	v_mul_f32_e32 v6, s1, v6
	s_delay_alu instid0(VALU_DEP_1) | instskip(SKIP_1) | instid1(VALU_DEP_1)
	v_fmac_f32_e32 v6, s7, v7
	v_mul_f32_e32 v7, s1, v7
	v_fmac_f32_e32 v7, s7, v8
	v_mul_f32_e32 v8, s1, v8
	s_delay_alu instid0(VALU_DEP_1) | instskip(SKIP_1) | instid1(VALU_DEP_1)
	v_fmac_f32_e32 v8, s7, v9
	v_mul_f32_e32 v9, s1, v9
	v_fmac_f32_e32 v9, s7, v10
	v_mul_f32_e32 v10, s1, v10
	s_delay_alu instid0(VALU_DEP_1) | instskip(SKIP_1) | instid1(VALU_DEP_1)
	v_fmac_f32_e32 v10, s7, v11
	v_mul_f32_e32 v11, s1, v11
	v_fmac_f32_e32 v11, s7, v12
	v_mul_f32_e32 v12, s1, v12
	s_delay_alu instid0(VALU_DEP_1) | instskip(SKIP_1) | instid1(VALU_DEP_1)
	v_fmac_f32_e32 v12, s7, v13
	v_mul_f32_e32 v13, s1, v13
	v_fmac_f32_e32 v13, s7, v14
	v_mul_f32_e32 v14, s1, v14
	s_delay_alu instid0(VALU_DEP_1) | instskip(SKIP_1) | instid1(VALU_DEP_1)
	v_fmac_f32_e32 v14, s7, v15
	v_mul_f32_e32 v15, s1, v15
	v_fmac_f32_e32 v15, s7, v16
	v_mul_f32_e32 v16, s1, v16
	s_delay_alu instid0(VALU_DEP_1) | instskip(SKIP_1) | instid1(VALU_DEP_1)
	v_fmac_f32_e32 v16, s7, v17
	v_mul_f32_e32 v17, s1, v17
	v_fmac_f32_e32 v17, s7, v18
.LBB0_14:                               ;   in Loop: Header=BB0_4 Depth=1
	s_or_b32 exec_lo, exec_lo, s5
	ds_store_b32 v0, v2
	s_waitcnt lgkmcnt(0)
	s_barrier
	buffer_gl0_inv
	ds_load_b32 v18, v0 offset:4
	s_add_i32 s4, s4, -1
	s_mov_b32 s5, exec_lo
	s_waitcnt lgkmcnt(0)
	s_barrier
	buffer_gl0_inv
	v_cmpx_ge_u32_e64 s4, v1
	s_cbranch_execz .LBB0_16
; %bb.15:                               ;   in Loop: Header=BB0_4 Depth=1
	v_mul_f32_e32 v2, s1, v2
	s_delay_alu instid0(VALU_DEP_1) | instskip(SKIP_1) | instid1(VALU_DEP_1)
	v_fmac_f32_e32 v2, s7, v3
	v_mul_f32_e32 v3, s1, v3
	v_fmac_f32_e32 v3, s7, v4
	v_mul_f32_e32 v4, s1, v4
	s_delay_alu instid0(VALU_DEP_1) | instskip(SKIP_1) | instid1(VALU_DEP_1)
	v_fmac_f32_e32 v4, s7, v5
	v_mul_f32_e32 v5, s1, v5
	v_fmac_f32_e32 v5, s7, v6
	v_mul_f32_e32 v6, s1, v6
	s_delay_alu instid0(VALU_DEP_1) | instskip(SKIP_1) | instid1(VALU_DEP_1)
	v_fmac_f32_e32 v6, s7, v7
	v_mul_f32_e32 v7, s1, v7
	v_fmac_f32_e32 v7, s7, v8
	v_mul_f32_e32 v8, s1, v8
	s_delay_alu instid0(VALU_DEP_1) | instskip(SKIP_1) | instid1(VALU_DEP_1)
	v_fmac_f32_e32 v8, s7, v9
	v_mul_f32_e32 v9, s1, v9
	v_fmac_f32_e32 v9, s7, v10
	v_mul_f32_e32 v10, s1, v10
	s_delay_alu instid0(VALU_DEP_1) | instskip(SKIP_1) | instid1(VALU_DEP_1)
	v_fmac_f32_e32 v10, s7, v11
	v_mul_f32_e32 v11, s1, v11
	v_fmac_f32_e32 v11, s7, v12
	v_mul_f32_e32 v12, s1, v12
	s_delay_alu instid0(VALU_DEP_1) | instskip(SKIP_1) | instid1(VALU_DEP_1)
	v_fmac_f32_e32 v12, s7, v13
	v_mul_f32_e32 v13, s1, v13
	v_fmac_f32_e32 v13, s7, v14
	v_mul_f32_e32 v14, s1, v14
	s_delay_alu instid0(VALU_DEP_1) | instskip(SKIP_1) | instid1(VALU_DEP_1)
	v_fmac_f32_e32 v14, s7, v15
	v_mul_f32_e32 v15, s1, v15
	v_fmac_f32_e32 v15, s7, v16
	v_mul_f32_e32 v16, s1, v16
	s_delay_alu instid0(VALU_DEP_1) | instskip(SKIP_1) | instid1(VALU_DEP_1)
	v_fmac_f32_e32 v16, s7, v17
	v_mul_f32_e32 v17, s1, v17
	v_fmac_f32_e32 v17, s7, v18
.LBB0_16:                               ;   in Loop: Header=BB0_4 Depth=1
	s_or_b32 exec_lo, exec_lo, s5
	ds_store_b32 v0, v2
	s_waitcnt lgkmcnt(0)
	s_barrier
	buffer_gl0_inv
	ds_load_b32 v18, v0 offset:4
	s_add_i32 s4, s4, -1
	s_mov_b32 s5, exec_lo
	s_waitcnt lgkmcnt(0)
	s_barrier
	buffer_gl0_inv
	v_cmpx_ge_u32_e64 s4, v1
	s_cbranch_execz .LBB0_18
; %bb.17:                               ;   in Loop: Header=BB0_4 Depth=1
	v_mul_f32_e32 v2, s1, v2
	s_delay_alu instid0(VALU_DEP_1) | instskip(SKIP_1) | instid1(VALU_DEP_1)
	v_fmac_f32_e32 v2, s7, v3
	v_mul_f32_e32 v3, s1, v3
	v_fmac_f32_e32 v3, s7, v4
	v_mul_f32_e32 v4, s1, v4
	s_delay_alu instid0(VALU_DEP_1) | instskip(SKIP_1) | instid1(VALU_DEP_1)
	v_fmac_f32_e32 v4, s7, v5
	v_mul_f32_e32 v5, s1, v5
	v_fmac_f32_e32 v5, s7, v6
	v_mul_f32_e32 v6, s1, v6
	s_delay_alu instid0(VALU_DEP_1) | instskip(SKIP_1) | instid1(VALU_DEP_1)
	v_fmac_f32_e32 v6, s7, v7
	v_mul_f32_e32 v7, s1, v7
	v_fmac_f32_e32 v7, s7, v8
	v_mul_f32_e32 v8, s1, v8
	s_delay_alu instid0(VALU_DEP_1) | instskip(SKIP_1) | instid1(VALU_DEP_1)
	v_fmac_f32_e32 v8, s7, v9
	v_mul_f32_e32 v9, s1, v9
	v_fmac_f32_e32 v9, s7, v10
	v_mul_f32_e32 v10, s1, v10
	s_delay_alu instid0(VALU_DEP_1) | instskip(SKIP_1) | instid1(VALU_DEP_1)
	v_fmac_f32_e32 v10, s7, v11
	v_mul_f32_e32 v11, s1, v11
	v_fmac_f32_e32 v11, s7, v12
	v_mul_f32_e32 v12, s1, v12
	s_delay_alu instid0(VALU_DEP_1) | instskip(SKIP_1) | instid1(VALU_DEP_1)
	v_fmac_f32_e32 v12, s7, v13
	v_mul_f32_e32 v13, s1, v13
	v_fmac_f32_e32 v13, s7, v14
	v_mul_f32_e32 v14, s1, v14
	s_delay_alu instid0(VALU_DEP_1) | instskip(SKIP_1) | instid1(VALU_DEP_1)
	v_fmac_f32_e32 v14, s7, v15
	v_mul_f32_e32 v15, s1, v15
	v_fmac_f32_e32 v15, s7, v16
	v_mul_f32_e32 v16, s1, v16
	s_delay_alu instid0(VALU_DEP_1) | instskip(SKIP_1) | instid1(VALU_DEP_1)
	v_fmac_f32_e32 v16, s7, v17
	v_mul_f32_e32 v17, s1, v17
	v_fmac_f32_e32 v17, s7, v18
.LBB0_18:                               ;   in Loop: Header=BB0_4 Depth=1
	s_or_b32 exec_lo, exec_lo, s5
	ds_store_b32 v0, v2
	s_waitcnt lgkmcnt(0)
	s_barrier
	buffer_gl0_inv
	ds_load_b32 v18, v0 offset:4
	s_add_i32 s4, s4, -1
	s_mov_b32 s5, exec_lo
	s_waitcnt lgkmcnt(0)
	s_barrier
	buffer_gl0_inv
	v_cmpx_ge_u32_e64 s4, v1
	s_cbranch_execz .LBB0_20
; %bb.19:                               ;   in Loop: Header=BB0_4 Depth=1
	v_mul_f32_e32 v2, s1, v2
	s_delay_alu instid0(VALU_DEP_1) | instskip(SKIP_1) | instid1(VALU_DEP_1)
	v_fmac_f32_e32 v2, s7, v3
	v_mul_f32_e32 v3, s1, v3
	v_fmac_f32_e32 v3, s7, v4
	v_mul_f32_e32 v4, s1, v4
	s_delay_alu instid0(VALU_DEP_1) | instskip(SKIP_1) | instid1(VALU_DEP_1)
	v_fmac_f32_e32 v4, s7, v5
	v_mul_f32_e32 v5, s1, v5
	v_fmac_f32_e32 v5, s7, v6
	v_mul_f32_e32 v6, s1, v6
	s_delay_alu instid0(VALU_DEP_1) | instskip(SKIP_1) | instid1(VALU_DEP_1)
	v_fmac_f32_e32 v6, s7, v7
	v_mul_f32_e32 v7, s1, v7
	v_fmac_f32_e32 v7, s7, v8
	v_mul_f32_e32 v8, s1, v8
	s_delay_alu instid0(VALU_DEP_1) | instskip(SKIP_1) | instid1(VALU_DEP_1)
	v_fmac_f32_e32 v8, s7, v9
	v_mul_f32_e32 v9, s1, v9
	v_fmac_f32_e32 v9, s7, v10
	v_mul_f32_e32 v10, s1, v10
	s_delay_alu instid0(VALU_DEP_1) | instskip(SKIP_1) | instid1(VALU_DEP_1)
	v_fmac_f32_e32 v10, s7, v11
	v_mul_f32_e32 v11, s1, v11
	v_fmac_f32_e32 v11, s7, v12
	v_mul_f32_e32 v12, s1, v12
	s_delay_alu instid0(VALU_DEP_1) | instskip(SKIP_1) | instid1(VALU_DEP_1)
	v_fmac_f32_e32 v12, s7, v13
	v_mul_f32_e32 v13, s1, v13
	v_fmac_f32_e32 v13, s7, v14
	v_mul_f32_e32 v14, s1, v14
	s_delay_alu instid0(VALU_DEP_1) | instskip(SKIP_1) | instid1(VALU_DEP_1)
	v_fmac_f32_e32 v14, s7, v15
	v_mul_f32_e32 v15, s1, v15
	v_fmac_f32_e32 v15, s7, v16
	v_mul_f32_e32 v16, s1, v16
	s_delay_alu instid0(VALU_DEP_1) | instskip(SKIP_1) | instid1(VALU_DEP_1)
	v_fmac_f32_e32 v16, s7, v17
	v_mul_f32_e32 v17, s1, v17
	v_fmac_f32_e32 v17, s7, v18
.LBB0_20:                               ;   in Loop: Header=BB0_4 Depth=1
	s_or_b32 exec_lo, exec_lo, s5
	ds_store_b32 v0, v2
	s_waitcnt lgkmcnt(0)
	s_barrier
	buffer_gl0_inv
	ds_load_b32 v18, v0 offset:4
	s_add_i32 s4, s4, -1
	s_mov_b32 s5, exec_lo
	s_waitcnt lgkmcnt(0)
	s_barrier
	buffer_gl0_inv
	v_cmpx_ge_u32_e64 s4, v1
	s_cbranch_execz .LBB0_22
; %bb.21:                               ;   in Loop: Header=BB0_4 Depth=1
	v_mul_f32_e32 v2, s1, v2
	s_delay_alu instid0(VALU_DEP_1) | instskip(SKIP_1) | instid1(VALU_DEP_1)
	v_fmac_f32_e32 v2, s7, v3
	v_mul_f32_e32 v3, s1, v3
	v_fmac_f32_e32 v3, s7, v4
	v_mul_f32_e32 v4, s1, v4
	s_delay_alu instid0(VALU_DEP_1) | instskip(SKIP_1) | instid1(VALU_DEP_1)
	v_fmac_f32_e32 v4, s7, v5
	v_mul_f32_e32 v5, s1, v5
	v_fmac_f32_e32 v5, s7, v6
	v_mul_f32_e32 v6, s1, v6
	s_delay_alu instid0(VALU_DEP_1) | instskip(SKIP_1) | instid1(VALU_DEP_1)
	v_fmac_f32_e32 v6, s7, v7
	v_mul_f32_e32 v7, s1, v7
	v_fmac_f32_e32 v7, s7, v8
	v_mul_f32_e32 v8, s1, v8
	s_delay_alu instid0(VALU_DEP_1) | instskip(SKIP_1) | instid1(VALU_DEP_1)
	v_fmac_f32_e32 v8, s7, v9
	v_mul_f32_e32 v9, s1, v9
	v_fmac_f32_e32 v9, s7, v10
	v_mul_f32_e32 v10, s1, v10
	s_delay_alu instid0(VALU_DEP_1) | instskip(SKIP_1) | instid1(VALU_DEP_1)
	v_fmac_f32_e32 v10, s7, v11
	v_mul_f32_e32 v11, s1, v11
	v_fmac_f32_e32 v11, s7, v12
	v_mul_f32_e32 v12, s1, v12
	s_delay_alu instid0(VALU_DEP_1) | instskip(SKIP_1) | instid1(VALU_DEP_1)
	v_fmac_f32_e32 v12, s7, v13
	v_mul_f32_e32 v13, s1, v13
	v_fmac_f32_e32 v13, s7, v14
	v_mul_f32_e32 v14, s1, v14
	s_delay_alu instid0(VALU_DEP_1) | instskip(SKIP_1) | instid1(VALU_DEP_1)
	v_fmac_f32_e32 v14, s7, v15
	v_mul_f32_e32 v15, s1, v15
	v_fmac_f32_e32 v15, s7, v16
	v_mul_f32_e32 v16, s1, v16
	s_delay_alu instid0(VALU_DEP_1) | instskip(SKIP_1) | instid1(VALU_DEP_1)
	v_fmac_f32_e32 v16, s7, v17
	v_mul_f32_e32 v17, s1, v17
	v_fmac_f32_e32 v17, s7, v18
.LBB0_22:                               ;   in Loop: Header=BB0_4 Depth=1
	s_or_b32 exec_lo, exec_lo, s5
	ds_store_b32 v0, v2
	s_waitcnt lgkmcnt(0)
	s_barrier
	buffer_gl0_inv
	ds_load_b32 v18, v0 offset:4
	s_add_i32 s4, s4, -1
	s_mov_b32 s5, exec_lo
	s_waitcnt lgkmcnt(0)
	s_barrier
	buffer_gl0_inv
	v_cmpx_ge_u32_e64 s4, v1
	s_cbranch_execz .LBB0_24
; %bb.23:                               ;   in Loop: Header=BB0_4 Depth=1
	v_mul_f32_e32 v2, s1, v2
	s_delay_alu instid0(VALU_DEP_1) | instskip(SKIP_1) | instid1(VALU_DEP_1)
	v_fmac_f32_e32 v2, s7, v3
	v_mul_f32_e32 v3, s1, v3
	v_fmac_f32_e32 v3, s7, v4
	v_mul_f32_e32 v4, s1, v4
	s_delay_alu instid0(VALU_DEP_1) | instskip(SKIP_1) | instid1(VALU_DEP_1)
	v_fmac_f32_e32 v4, s7, v5
	v_mul_f32_e32 v5, s1, v5
	v_fmac_f32_e32 v5, s7, v6
	v_mul_f32_e32 v6, s1, v6
	s_delay_alu instid0(VALU_DEP_1) | instskip(SKIP_1) | instid1(VALU_DEP_1)
	v_fmac_f32_e32 v6, s7, v7
	v_mul_f32_e32 v7, s1, v7
	v_fmac_f32_e32 v7, s7, v8
	v_mul_f32_e32 v8, s1, v8
	s_delay_alu instid0(VALU_DEP_1) | instskip(SKIP_1) | instid1(VALU_DEP_1)
	v_fmac_f32_e32 v8, s7, v9
	v_mul_f32_e32 v9, s1, v9
	v_fmac_f32_e32 v9, s7, v10
	v_mul_f32_e32 v10, s1, v10
	s_delay_alu instid0(VALU_DEP_1) | instskip(SKIP_1) | instid1(VALU_DEP_1)
	v_fmac_f32_e32 v10, s7, v11
	v_mul_f32_e32 v11, s1, v11
	v_fmac_f32_e32 v11, s7, v12
	v_mul_f32_e32 v12, s1, v12
	s_delay_alu instid0(VALU_DEP_1) | instskip(SKIP_1) | instid1(VALU_DEP_1)
	v_fmac_f32_e32 v12, s7, v13
	v_mul_f32_e32 v13, s1, v13
	v_fmac_f32_e32 v13, s7, v14
	v_mul_f32_e32 v14, s1, v14
	s_delay_alu instid0(VALU_DEP_1) | instskip(SKIP_1) | instid1(VALU_DEP_1)
	v_fmac_f32_e32 v14, s7, v15
	v_mul_f32_e32 v15, s1, v15
	v_fmac_f32_e32 v15, s7, v16
	v_mul_f32_e32 v16, s1, v16
	s_delay_alu instid0(VALU_DEP_1) | instskip(SKIP_1) | instid1(VALU_DEP_1)
	v_fmac_f32_e32 v16, s7, v17
	v_mul_f32_e32 v17, s1, v17
	v_fmac_f32_e32 v17, s7, v18
.LBB0_24:                               ;   in Loop: Header=BB0_4 Depth=1
	s_or_b32 exec_lo, exec_lo, s5
	ds_store_b32 v0, v2
	s_waitcnt lgkmcnt(0)
	s_barrier
	buffer_gl0_inv
	ds_load_b32 v18, v0 offset:4
	s_add_i32 s4, s4, -1
	s_mov_b32 s5, exec_lo
	s_waitcnt lgkmcnt(0)
	s_barrier
	buffer_gl0_inv
	v_cmpx_ge_u32_e64 s4, v1
	s_cbranch_execz .LBB0_26
; %bb.25:                               ;   in Loop: Header=BB0_4 Depth=1
	v_mul_f32_e32 v2, s1, v2
	s_delay_alu instid0(VALU_DEP_1) | instskip(SKIP_1) | instid1(VALU_DEP_1)
	v_fmac_f32_e32 v2, s7, v3
	v_mul_f32_e32 v3, s1, v3
	v_fmac_f32_e32 v3, s7, v4
	v_mul_f32_e32 v4, s1, v4
	s_delay_alu instid0(VALU_DEP_1) | instskip(SKIP_1) | instid1(VALU_DEP_1)
	v_fmac_f32_e32 v4, s7, v5
	v_mul_f32_e32 v5, s1, v5
	v_fmac_f32_e32 v5, s7, v6
	v_mul_f32_e32 v6, s1, v6
	s_delay_alu instid0(VALU_DEP_1) | instskip(SKIP_1) | instid1(VALU_DEP_1)
	v_fmac_f32_e32 v6, s7, v7
	v_mul_f32_e32 v7, s1, v7
	v_fmac_f32_e32 v7, s7, v8
	v_mul_f32_e32 v8, s1, v8
	s_delay_alu instid0(VALU_DEP_1) | instskip(SKIP_1) | instid1(VALU_DEP_1)
	v_fmac_f32_e32 v8, s7, v9
	v_mul_f32_e32 v9, s1, v9
	v_fmac_f32_e32 v9, s7, v10
	v_mul_f32_e32 v10, s1, v10
	s_delay_alu instid0(VALU_DEP_1) | instskip(SKIP_1) | instid1(VALU_DEP_1)
	v_fmac_f32_e32 v10, s7, v11
	v_mul_f32_e32 v11, s1, v11
	v_fmac_f32_e32 v11, s7, v12
	v_mul_f32_e32 v12, s1, v12
	s_delay_alu instid0(VALU_DEP_1) | instskip(SKIP_1) | instid1(VALU_DEP_1)
	v_fmac_f32_e32 v12, s7, v13
	v_mul_f32_e32 v13, s1, v13
	v_fmac_f32_e32 v13, s7, v14
	v_mul_f32_e32 v14, s1, v14
	s_delay_alu instid0(VALU_DEP_1) | instskip(SKIP_1) | instid1(VALU_DEP_1)
	v_fmac_f32_e32 v14, s7, v15
	v_mul_f32_e32 v15, s1, v15
	v_fmac_f32_e32 v15, s7, v16
	v_mul_f32_e32 v16, s1, v16
	s_delay_alu instid0(VALU_DEP_1) | instskip(SKIP_1) | instid1(VALU_DEP_1)
	v_fmac_f32_e32 v16, s7, v17
	v_mul_f32_e32 v17, s1, v17
	v_fmac_f32_e32 v17, s7, v18
.LBB0_26:                               ;   in Loop: Header=BB0_4 Depth=1
	s_or_b32 exec_lo, exec_lo, s5
	ds_store_b32 v0, v2
	s_waitcnt lgkmcnt(0)
	s_barrier
	buffer_gl0_inv
	ds_load_b32 v18, v0 offset:4
	s_add_i32 s4, s4, -1
	s_mov_b32 s5, exec_lo
	s_waitcnt lgkmcnt(0)
	s_barrier
	buffer_gl0_inv
	v_cmpx_ge_u32_e64 s4, v1
	s_cbranch_execz .LBB0_28
; %bb.27:                               ;   in Loop: Header=BB0_4 Depth=1
	v_mul_f32_e32 v2, s1, v2
	s_delay_alu instid0(VALU_DEP_1) | instskip(SKIP_1) | instid1(VALU_DEP_1)
	v_fmac_f32_e32 v2, s7, v3
	v_mul_f32_e32 v3, s1, v3
	v_fmac_f32_e32 v3, s7, v4
	v_mul_f32_e32 v4, s1, v4
	s_delay_alu instid0(VALU_DEP_1) | instskip(SKIP_1) | instid1(VALU_DEP_1)
	v_fmac_f32_e32 v4, s7, v5
	v_mul_f32_e32 v5, s1, v5
	v_fmac_f32_e32 v5, s7, v6
	v_mul_f32_e32 v6, s1, v6
	s_delay_alu instid0(VALU_DEP_1) | instskip(SKIP_1) | instid1(VALU_DEP_1)
	v_fmac_f32_e32 v6, s7, v7
	v_mul_f32_e32 v7, s1, v7
	v_fmac_f32_e32 v7, s7, v8
	v_mul_f32_e32 v8, s1, v8
	s_delay_alu instid0(VALU_DEP_1) | instskip(SKIP_1) | instid1(VALU_DEP_1)
	v_fmac_f32_e32 v8, s7, v9
	v_mul_f32_e32 v9, s1, v9
	v_fmac_f32_e32 v9, s7, v10
	v_mul_f32_e32 v10, s1, v10
	s_delay_alu instid0(VALU_DEP_1) | instskip(SKIP_1) | instid1(VALU_DEP_1)
	v_fmac_f32_e32 v10, s7, v11
	v_mul_f32_e32 v11, s1, v11
	v_fmac_f32_e32 v11, s7, v12
	v_mul_f32_e32 v12, s1, v12
	s_delay_alu instid0(VALU_DEP_1) | instskip(SKIP_1) | instid1(VALU_DEP_1)
	v_fmac_f32_e32 v12, s7, v13
	v_mul_f32_e32 v13, s1, v13
	v_fmac_f32_e32 v13, s7, v14
	v_mul_f32_e32 v14, s1, v14
	s_delay_alu instid0(VALU_DEP_1) | instskip(SKIP_1) | instid1(VALU_DEP_1)
	v_fmac_f32_e32 v14, s7, v15
	v_mul_f32_e32 v15, s1, v15
	v_fmac_f32_e32 v15, s7, v16
	v_mul_f32_e32 v16, s1, v16
	s_delay_alu instid0(VALU_DEP_1) | instskip(SKIP_1) | instid1(VALU_DEP_1)
	v_fmac_f32_e32 v16, s7, v17
	v_mul_f32_e32 v17, s1, v17
	v_fmac_f32_e32 v17, s7, v18
.LBB0_28:                               ;   in Loop: Header=BB0_4 Depth=1
	s_or_b32 exec_lo, exec_lo, s5
	ds_store_b32 v0, v2
	s_waitcnt lgkmcnt(0)
	s_barrier
	buffer_gl0_inv
	ds_load_b32 v18, v0 offset:4
	s_add_i32 s4, s4, -1
	s_mov_b32 s5, exec_lo
	s_waitcnt lgkmcnt(0)
	s_barrier
	buffer_gl0_inv
	v_cmpx_ge_u32_e64 s4, v1
	s_cbranch_execz .LBB0_30
; %bb.29:                               ;   in Loop: Header=BB0_4 Depth=1
	v_mul_f32_e32 v2, s1, v2
	s_delay_alu instid0(VALU_DEP_1) | instskip(SKIP_1) | instid1(VALU_DEP_1)
	v_fmac_f32_e32 v2, s7, v3
	v_mul_f32_e32 v3, s1, v3
	v_fmac_f32_e32 v3, s7, v4
	v_mul_f32_e32 v4, s1, v4
	s_delay_alu instid0(VALU_DEP_1) | instskip(SKIP_1) | instid1(VALU_DEP_1)
	v_fmac_f32_e32 v4, s7, v5
	v_mul_f32_e32 v5, s1, v5
	v_fmac_f32_e32 v5, s7, v6
	v_mul_f32_e32 v6, s1, v6
	s_delay_alu instid0(VALU_DEP_1) | instskip(SKIP_1) | instid1(VALU_DEP_1)
	v_fmac_f32_e32 v6, s7, v7
	v_mul_f32_e32 v7, s1, v7
	v_fmac_f32_e32 v7, s7, v8
	v_mul_f32_e32 v8, s1, v8
	s_delay_alu instid0(VALU_DEP_1) | instskip(SKIP_1) | instid1(VALU_DEP_1)
	v_fmac_f32_e32 v8, s7, v9
	v_mul_f32_e32 v9, s1, v9
	v_fmac_f32_e32 v9, s7, v10
	v_mul_f32_e32 v10, s1, v10
	s_delay_alu instid0(VALU_DEP_1) | instskip(SKIP_1) | instid1(VALU_DEP_1)
	v_fmac_f32_e32 v10, s7, v11
	v_mul_f32_e32 v11, s1, v11
	v_fmac_f32_e32 v11, s7, v12
	v_mul_f32_e32 v12, s1, v12
	s_delay_alu instid0(VALU_DEP_1) | instskip(SKIP_1) | instid1(VALU_DEP_1)
	v_fmac_f32_e32 v12, s7, v13
	v_mul_f32_e32 v13, s1, v13
	v_fmac_f32_e32 v13, s7, v14
	v_mul_f32_e32 v14, s1, v14
	s_delay_alu instid0(VALU_DEP_1) | instskip(SKIP_1) | instid1(VALU_DEP_1)
	v_fmac_f32_e32 v14, s7, v15
	v_mul_f32_e32 v15, s1, v15
	v_fmac_f32_e32 v15, s7, v16
	v_mul_f32_e32 v16, s1, v16
	s_delay_alu instid0(VALU_DEP_1) | instskip(SKIP_1) | instid1(VALU_DEP_1)
	v_fmac_f32_e32 v16, s7, v17
	v_mul_f32_e32 v17, s1, v17
	v_fmac_f32_e32 v17, s7, v18
.LBB0_30:                               ;   in Loop: Header=BB0_4 Depth=1
	s_or_b32 exec_lo, exec_lo, s5
	ds_store_b32 v0, v2
	s_waitcnt lgkmcnt(0)
	s_barrier
	buffer_gl0_inv
	ds_load_b32 v18, v0 offset:4
	s_add_i32 s4, s4, -1
	s_mov_b32 s5, exec_lo
	s_waitcnt lgkmcnt(0)
	s_barrier
	buffer_gl0_inv
	v_cmpx_ge_u32_e64 s4, v1
	s_cbranch_execz .LBB0_32
; %bb.31:                               ;   in Loop: Header=BB0_4 Depth=1
	v_mul_f32_e32 v2, s1, v2
	s_delay_alu instid0(VALU_DEP_1) | instskip(SKIP_1) | instid1(VALU_DEP_1)
	v_fmac_f32_e32 v2, s7, v3
	v_mul_f32_e32 v3, s1, v3
	v_fmac_f32_e32 v3, s7, v4
	v_mul_f32_e32 v4, s1, v4
	s_delay_alu instid0(VALU_DEP_1) | instskip(SKIP_1) | instid1(VALU_DEP_1)
	v_fmac_f32_e32 v4, s7, v5
	v_mul_f32_e32 v5, s1, v5
	v_fmac_f32_e32 v5, s7, v6
	v_mul_f32_e32 v6, s1, v6
	s_delay_alu instid0(VALU_DEP_1) | instskip(SKIP_1) | instid1(VALU_DEP_1)
	v_fmac_f32_e32 v6, s7, v7
	v_mul_f32_e32 v7, s1, v7
	v_fmac_f32_e32 v7, s7, v8
	v_mul_f32_e32 v8, s1, v8
	s_delay_alu instid0(VALU_DEP_1) | instskip(SKIP_1) | instid1(VALU_DEP_1)
	v_fmac_f32_e32 v8, s7, v9
	v_mul_f32_e32 v9, s1, v9
	v_fmac_f32_e32 v9, s7, v10
	v_mul_f32_e32 v10, s1, v10
	s_delay_alu instid0(VALU_DEP_1) | instskip(SKIP_1) | instid1(VALU_DEP_1)
	v_fmac_f32_e32 v10, s7, v11
	v_mul_f32_e32 v11, s1, v11
	v_fmac_f32_e32 v11, s7, v12
	v_mul_f32_e32 v12, s1, v12
	s_delay_alu instid0(VALU_DEP_1) | instskip(SKIP_1) | instid1(VALU_DEP_1)
	v_fmac_f32_e32 v12, s7, v13
	v_mul_f32_e32 v13, s1, v13
	v_fmac_f32_e32 v13, s7, v14
	v_mul_f32_e32 v14, s1, v14
	s_delay_alu instid0(VALU_DEP_1) | instskip(SKIP_1) | instid1(VALU_DEP_1)
	v_fmac_f32_e32 v14, s7, v15
	v_mul_f32_e32 v15, s1, v15
	v_fmac_f32_e32 v15, s7, v16
	v_mul_f32_e32 v16, s1, v16
	s_delay_alu instid0(VALU_DEP_1) | instskip(SKIP_1) | instid1(VALU_DEP_1)
	v_fmac_f32_e32 v16, s7, v17
	v_mul_f32_e32 v17, s1, v17
	v_fmac_f32_e32 v17, s7, v18
.LBB0_32:                               ;   in Loop: Header=BB0_4 Depth=1
	s_or_b32 exec_lo, exec_lo, s5
	ds_store_b32 v0, v2
	s_waitcnt lgkmcnt(0)
	s_barrier
	buffer_gl0_inv
	ds_load_b32 v18, v0 offset:4
	s_add_i32 s4, s4, -1
	s_mov_b32 s5, exec_lo
	s_waitcnt lgkmcnt(0)
	s_barrier
	buffer_gl0_inv
	v_cmpx_ge_u32_e64 s4, v1
	s_cbranch_execz .LBB0_34
; %bb.33:                               ;   in Loop: Header=BB0_4 Depth=1
	v_mul_f32_e32 v2, s1, v2
	s_delay_alu instid0(VALU_DEP_1) | instskip(SKIP_1) | instid1(VALU_DEP_1)
	v_fmac_f32_e32 v2, s7, v3
	v_mul_f32_e32 v3, s1, v3
	v_fmac_f32_e32 v3, s7, v4
	v_mul_f32_e32 v4, s1, v4
	s_delay_alu instid0(VALU_DEP_1) | instskip(SKIP_1) | instid1(VALU_DEP_1)
	v_fmac_f32_e32 v4, s7, v5
	v_mul_f32_e32 v5, s1, v5
	v_fmac_f32_e32 v5, s7, v6
	v_mul_f32_e32 v6, s1, v6
	s_delay_alu instid0(VALU_DEP_1) | instskip(SKIP_1) | instid1(VALU_DEP_1)
	v_fmac_f32_e32 v6, s7, v7
	v_mul_f32_e32 v7, s1, v7
	v_fmac_f32_e32 v7, s7, v8
	v_mul_f32_e32 v8, s1, v8
	s_delay_alu instid0(VALU_DEP_1) | instskip(SKIP_1) | instid1(VALU_DEP_1)
	v_fmac_f32_e32 v8, s7, v9
	v_mul_f32_e32 v9, s1, v9
	v_fmac_f32_e32 v9, s7, v10
	v_mul_f32_e32 v10, s1, v10
	s_delay_alu instid0(VALU_DEP_1) | instskip(SKIP_1) | instid1(VALU_DEP_1)
	v_fmac_f32_e32 v10, s7, v11
	v_mul_f32_e32 v11, s1, v11
	v_fmac_f32_e32 v11, s7, v12
	v_mul_f32_e32 v12, s1, v12
	s_delay_alu instid0(VALU_DEP_1) | instskip(SKIP_1) | instid1(VALU_DEP_1)
	v_fmac_f32_e32 v12, s7, v13
	v_mul_f32_e32 v13, s1, v13
	v_fmac_f32_e32 v13, s7, v14
	v_mul_f32_e32 v14, s1, v14
	s_delay_alu instid0(VALU_DEP_1) | instskip(SKIP_1) | instid1(VALU_DEP_1)
	v_fmac_f32_e32 v14, s7, v15
	v_mul_f32_e32 v15, s1, v15
	v_fmac_f32_e32 v15, s7, v16
	v_mul_f32_e32 v16, s1, v16
	s_delay_alu instid0(VALU_DEP_1) | instskip(SKIP_1) | instid1(VALU_DEP_1)
	v_fmac_f32_e32 v16, s7, v17
	v_mul_f32_e32 v17, s1, v17
	v_fmac_f32_e32 v17, s7, v18
.LBB0_34:                               ;   in Loop: Header=BB0_4 Depth=1
	s_or_b32 exec_lo, exec_lo, s5
	ds_store_b32 v0, v2
	s_waitcnt lgkmcnt(0)
	s_barrier
	buffer_gl0_inv
	ds_load_b32 v18, v0 offset:4
	s_add_i32 s5, s4, -1
	s_mov_b32 s4, exec_lo
	s_waitcnt lgkmcnt(0)
	s_barrier
	buffer_gl0_inv
	v_cmpx_ge_u32_e64 s5, v1
	s_cbranch_execz .LBB0_3
; %bb.35:                               ;   in Loop: Header=BB0_4 Depth=1
	v_mul_f32_e32 v2, s1, v2
	s_delay_alu instid0(VALU_DEP_1) | instskip(SKIP_1) | instid1(VALU_DEP_1)
	v_fmac_f32_e32 v2, s7, v3
	v_mul_f32_e32 v3, s1, v3
	v_fmac_f32_e32 v3, s7, v4
	v_mul_f32_e32 v4, s1, v4
	s_delay_alu instid0(VALU_DEP_1) | instskip(SKIP_1) | instid1(VALU_DEP_1)
	v_fmac_f32_e32 v4, s7, v5
	v_mul_f32_e32 v5, s1, v5
	v_fmac_f32_e32 v5, s7, v6
	;; [unrolled: 5-line block ×8, first 2 shown]
	s_branch .LBB0_3
.LBB0_36:
	s_and_saveexec_b32 s0, vcc_lo
	s_cbranch_execz .LBB0_38
; %bb.37:
	s_lshl_b64 s[0:1], s[8:9], 2
	v_mov_b32_e32 v0, 0
	s_add_u32 s0, s2, s0
	s_addc_u32 s1, s3, s1
	global_store_b32 v0, v2, s[0:1]
.LBB0_38:
	s_nop 0
	s_sendmsg sendmsg(MSG_DEALLOC_VGPRS)
	s_endpgm
	.section	.rodata,"a",@progbits
	.p2align	6, 0x0
	.amdhsa_kernel _Z21binomialOptionsKernelPK13__TOptionDataPf
		.amdhsa_group_segment_fixed_size 516
		.amdhsa_private_segment_fixed_size 0
		.amdhsa_kernarg_size 16
		.amdhsa_user_sgpr_count 15
		.amdhsa_user_sgpr_dispatch_ptr 0
		.amdhsa_user_sgpr_queue_ptr 0
		.amdhsa_user_sgpr_kernarg_segment_ptr 1
		.amdhsa_user_sgpr_dispatch_id 0
		.amdhsa_user_sgpr_private_segment_size 0
		.amdhsa_wavefront_size32 1
		.amdhsa_uses_dynamic_stack 0
		.amdhsa_enable_private_segment 0
		.amdhsa_system_sgpr_workgroup_id_x 1
		.amdhsa_system_sgpr_workgroup_id_y 0
		.amdhsa_system_sgpr_workgroup_id_z 0
		.amdhsa_system_sgpr_workgroup_info 0
		.amdhsa_system_vgpr_workitem_id 0
		.amdhsa_next_free_vgpr 19
		.amdhsa_next_free_sgpr 16
		.amdhsa_reserve_vcc 1
		.amdhsa_float_round_mode_32 0
		.amdhsa_float_round_mode_16_64 0
		.amdhsa_float_denorm_mode_32 3
		.amdhsa_float_denorm_mode_16_64 3
		.amdhsa_dx10_clamp 1
		.amdhsa_ieee_mode 1
		.amdhsa_fp16_overflow 0
		.amdhsa_workgroup_processor_mode 1
		.amdhsa_memory_ordered 1
		.amdhsa_forward_progress 0
		.amdhsa_shared_vgpr_count 0
		.amdhsa_exception_fp_ieee_invalid_op 0
		.amdhsa_exception_fp_denorm_src 0
		.amdhsa_exception_fp_ieee_div_zero 0
		.amdhsa_exception_fp_ieee_overflow 0
		.amdhsa_exception_fp_ieee_underflow 0
		.amdhsa_exception_fp_ieee_inexact 0
		.amdhsa_exception_int_div_zero 0
	.end_amdhsa_kernel
	.text
.Lfunc_end0:
	.size	_Z21binomialOptionsKernelPK13__TOptionDataPf, .Lfunc_end0-_Z21binomialOptionsKernelPK13__TOptionDataPf
                                        ; -- End function
	.section	.AMDGPU.csdata,"",@progbits
; Kernel info:
; codeLenInByte = 4704
; NumSgprs: 18
; NumVgprs: 19
; ScratchSize: 0
; MemoryBound: 0
; FloatMode: 240
; IeeeMode: 1
; LDSByteSize: 516 bytes/workgroup (compile time only)
; SGPRBlocks: 2
; VGPRBlocks: 2
; NumSGPRsForWavesPerEU: 18
; NumVGPRsForWavesPerEU: 19
; Occupancy: 16
; WaveLimiterHint : 0
; COMPUTE_PGM_RSRC2:SCRATCH_EN: 0
; COMPUTE_PGM_RSRC2:USER_SGPR: 15
; COMPUTE_PGM_RSRC2:TRAP_HANDLER: 0
; COMPUTE_PGM_RSRC2:TGID_X_EN: 1
; COMPUTE_PGM_RSRC2:TGID_Y_EN: 0
; COMPUTE_PGM_RSRC2:TGID_Z_EN: 0
; COMPUTE_PGM_RSRC2:TIDIG_COMP_CNT: 0
	.text
	.p2alignl 7, 3214868480
	.fill 96, 4, 3214868480
	.type	__hip_cuid_56ab5d3f244fe4c1,@object ; @__hip_cuid_56ab5d3f244fe4c1
	.section	.bss,"aw",@nobits
	.globl	__hip_cuid_56ab5d3f244fe4c1
__hip_cuid_56ab5d3f244fe4c1:
	.byte	0                               ; 0x0
	.size	__hip_cuid_56ab5d3f244fe4c1, 1

	.ident	"AMD clang version 19.0.0git (https://github.com/RadeonOpenCompute/llvm-project roc-6.4.0 25133 c7fe45cf4b819c5991fe208aaa96edf142730f1d)"
	.section	".note.GNU-stack","",@progbits
	.addrsig
	.addrsig_sym __hip_cuid_56ab5d3f244fe4c1
	.amdgpu_metadata
---
amdhsa.kernels:
  - .args:
      - .actual_access:  read_only
        .address_space:  global
        .offset:         0
        .size:           8
        .value_kind:     global_buffer
      - .actual_access:  write_only
        .address_space:  global
        .offset:         8
        .size:           8
        .value_kind:     global_buffer
    .group_segment_fixed_size: 516
    .kernarg_segment_align: 8
    .kernarg_segment_size: 16
    .language:       OpenCL C
    .language_version:
      - 2
      - 0
    .max_flat_workgroup_size: 1024
    .name:           _Z21binomialOptionsKernelPK13__TOptionDataPf
    .private_segment_fixed_size: 0
    .sgpr_count:     18
    .sgpr_spill_count: 0
    .symbol:         _Z21binomialOptionsKernelPK13__TOptionDataPf.kd
    .uniform_work_group_size: 1
    .uses_dynamic_stack: false
    .vgpr_count:     19
    .vgpr_spill_count: 0
    .wavefront_size: 32
    .workgroup_processor_mode: 1
amdhsa.target:   amdgcn-amd-amdhsa--gfx1100
amdhsa.version:
  - 1
  - 2
...

	.end_amdgpu_metadata
